;; amdgpu-corpus repo=ROCm/rocFFT kind=compiled arch=gfx950 opt=O3
	.text
	.amdgcn_target "amdgcn-amd-amdhsa--gfx950"
	.amdhsa_code_object_version 6
	.protected	fft_rtc_back_len200_factors_10_10_2_wgs_60_tpt_20_halfLds_sp_ip_CI_unitstride_sbrr_R2C_dirReg ; -- Begin function fft_rtc_back_len200_factors_10_10_2_wgs_60_tpt_20_halfLds_sp_ip_CI_unitstride_sbrr_R2C_dirReg
	.globl	fft_rtc_back_len200_factors_10_10_2_wgs_60_tpt_20_halfLds_sp_ip_CI_unitstride_sbrr_R2C_dirReg
	.p2align	8
	.type	fft_rtc_back_len200_factors_10_10_2_wgs_60_tpt_20_halfLds_sp_ip_CI_unitstride_sbrr_R2C_dirReg,@function
fft_rtc_back_len200_factors_10_10_2_wgs_60_tpt_20_halfLds_sp_ip_CI_unitstride_sbrr_R2C_dirReg: ; @fft_rtc_back_len200_factors_10_10_2_wgs_60_tpt_20_halfLds_sp_ip_CI_unitstride_sbrr_R2C_dirReg
; %bb.0:
	s_load_dwordx2 s[8:9], s[0:1], 0x50
	s_load_dwordx4 s[4:7], s[0:1], 0x0
	s_load_dwordx2 s[10:11], s[0:1], 0x18
	v_mul_u32_u24_e32 v1, 0xccd, v0
	v_lshrrev_b32_e32 v2, 16, v1
	v_mad_u64_u32 v[2:3], s[2:3], s2, 3, v[2:3]
	v_mov_b32_e32 v6, 0
	v_mov_b32_e32 v3, v6
	s_waitcnt lgkmcnt(0)
	v_cmp_lt_u64_e64 s[2:3], s[6:7], 2
	s_and_b64 vcc, exec, s[2:3]
	v_mov_b64_e32 v[4:5], 0
	v_mov_b64_e32 v[10:11], v[2:3]
	s_cbranch_vccnz .LBB0_8
; %bb.1:
	s_load_dwordx2 s[2:3], s[0:1], 0x10
	s_add_u32 s12, s10, 8
	s_addc_u32 s13, s11, 0
	s_mov_b64 s[14:15], 1
	v_mov_b64_e32 v[4:5], 0
	s_waitcnt lgkmcnt(0)
	s_add_u32 s16, s2, 8
	s_addc_u32 s17, s3, 0
	v_mov_b64_e32 v[8:9], v[2:3]
.LBB0_2:                                ; =>This Inner Loop Header: Depth=1
	s_load_dwordx2 s[18:19], s[16:17], 0x0
                                        ; implicit-def: $vgpr10_vgpr11
	s_waitcnt lgkmcnt(0)
	v_or_b32_e32 v7, s19, v9
	v_cmp_ne_u64_e32 vcc, 0, v[6:7]
	s_and_saveexec_b64 s[2:3], vcc
	s_xor_b64 s[20:21], exec, s[2:3]
	s_cbranch_execz .LBB0_4
; %bb.3:                                ;   in Loop: Header=BB0_2 Depth=1
	v_cvt_f32_u32_e32 v1, s18
	v_cvt_f32_u32_e32 v3, s19
	s_sub_u32 s2, 0, s18
	s_subb_u32 s3, 0, s19
	v_fmac_f32_e32 v1, 0x4f800000, v3
	v_rcp_f32_e32 v1, v1
	s_nop 0
	v_mul_f32_e32 v1, 0x5f7ffffc, v1
	v_mul_f32_e32 v3, 0x2f800000, v1
	v_trunc_f32_e32 v3, v3
	v_fmac_f32_e32 v1, 0xcf800000, v3
	v_cvt_u32_f32_e32 v3, v3
	v_cvt_u32_f32_e32 v1, v1
	v_mul_lo_u32 v7, s2, v3
	v_mul_hi_u32 v10, s2, v1
	v_mul_lo_u32 v11, s3, v1
	v_add_u32_e32 v7, v10, v7
	v_mul_lo_u32 v14, s2, v1
	v_add_u32_e32 v7, v7, v11
	v_mul_hi_u32 v10, v1, v14
	v_mul_hi_u32 v13, v1, v7
	v_mul_lo_u32 v12, v1, v7
	v_mov_b32_e32 v11, v6
	v_lshl_add_u64 v[10:11], v[10:11], 0, v[12:13]
	v_mul_hi_u32 v13, v3, v14
	v_mul_lo_u32 v14, v3, v14
	v_add_co_u32_e32 v10, vcc, v10, v14
	v_mul_hi_u32 v12, v3, v7
	s_nop 0
	v_addc_co_u32_e32 v10, vcc, v11, v13, vcc
	v_mov_b32_e32 v11, v6
	s_nop 0
	v_addc_co_u32_e32 v13, vcc, 0, v12, vcc
	v_mul_lo_u32 v12, v3, v7
	v_lshl_add_u64 v[10:11], v[10:11], 0, v[12:13]
	v_add_co_u32_e32 v1, vcc, v1, v10
	v_mul_hi_u32 v10, s2, v1
	s_nop 0
	v_addc_co_u32_e32 v3, vcc, v3, v11, vcc
	v_mul_lo_u32 v7, s2, v3
	v_add_u32_e32 v7, v10, v7
	v_mul_lo_u32 v10, s3, v1
	v_add_u32_e32 v7, v7, v10
	v_mul_lo_u32 v12, s2, v1
	v_mul_hi_u32 v15, v3, v12
	v_mul_lo_u32 v16, v3, v12
	v_mul_hi_u32 v11, v1, v7
	;; [unrolled: 2-line block ×3, first 2 shown]
	v_mov_b32_e32 v13, v6
	v_lshl_add_u64 v[10:11], v[12:13], 0, v[10:11]
	v_add_co_u32_e32 v10, vcc, v10, v16
	v_mul_hi_u32 v14, v3, v7
	s_nop 0
	v_addc_co_u32_e32 v10, vcc, v11, v15, vcc
	v_mul_lo_u32 v12, v3, v7
	s_nop 0
	v_addc_co_u32_e32 v13, vcc, 0, v14, vcc
	v_mov_b32_e32 v11, v6
	v_lshl_add_u64 v[10:11], v[10:11], 0, v[12:13]
	v_add_co_u32_e32 v1, vcc, v1, v10
	v_mul_hi_u32 v12, v8, v1
	s_nop 0
	v_addc_co_u32_e32 v3, vcc, v3, v11, vcc
	v_mad_u64_u32 v[10:11], s[2:3], v8, v3, 0
	v_mov_b32_e32 v13, v6
	v_lshl_add_u64 v[10:11], v[12:13], 0, v[10:11]
	v_mad_u64_u32 v[14:15], s[2:3], v9, v1, 0
	v_add_co_u32_e32 v1, vcc, v10, v14
	v_mad_u64_u32 v[12:13], s[2:3], v9, v3, 0
	s_nop 0
	v_addc_co_u32_e32 v10, vcc, v11, v15, vcc
	v_mov_b32_e32 v11, v6
	s_nop 0
	v_addc_co_u32_e32 v13, vcc, 0, v13, vcc
	v_lshl_add_u64 v[10:11], v[10:11], 0, v[12:13]
	v_mul_lo_u32 v1, s19, v10
	v_mul_lo_u32 v3, s18, v11
	v_mad_u64_u32 v[12:13], s[2:3], s18, v10, 0
	v_add3_u32 v1, v13, v3, v1
	v_sub_u32_e32 v3, v9, v1
	v_mov_b32_e32 v7, s19
	v_sub_co_u32_e32 v16, vcc, v8, v12
	v_lshl_add_u64 v[14:15], v[10:11], 0, 1
	s_nop 0
	v_subb_co_u32_e64 v3, s[2:3], v3, v7, vcc
	v_subrev_co_u32_e64 v7, s[2:3], s18, v16
	v_subb_co_u32_e32 v1, vcc, v9, v1, vcc
	s_nop 0
	v_subbrev_co_u32_e64 v3, s[2:3], 0, v3, s[2:3]
	v_cmp_le_u32_e64 s[2:3], s19, v3
	v_cmp_le_u32_e32 vcc, s19, v1
	s_nop 0
	v_cndmask_b32_e64 v12, 0, -1, s[2:3]
	v_cmp_le_u32_e64 s[2:3], s18, v7
	s_nop 1
	v_cndmask_b32_e64 v7, 0, -1, s[2:3]
	v_cmp_eq_u32_e64 s[2:3], s19, v3
	s_nop 1
	v_cndmask_b32_e64 v3, v12, v7, s[2:3]
	v_lshl_add_u64 v[12:13], v[10:11], 0, 2
	v_cmp_ne_u32_e64 s[2:3], 0, v3
	v_cndmask_b32_e64 v7, 0, -1, vcc
	v_cmp_le_u32_e32 vcc, s18, v16
	v_cndmask_b32_e64 v3, v15, v13, s[2:3]
	s_nop 0
	v_cndmask_b32_e64 v13, 0, -1, vcc
	v_cmp_eq_u32_e32 vcc, s19, v1
	s_nop 1
	v_cndmask_b32_e32 v1, v7, v13, vcc
	v_cmp_ne_u32_e32 vcc, 0, v1
	v_cndmask_b32_e64 v1, v14, v12, s[2:3]
	s_nop 0
	v_cndmask_b32_e32 v11, v11, v3, vcc
	v_cndmask_b32_e32 v10, v10, v1, vcc
.LBB0_4:                                ;   in Loop: Header=BB0_2 Depth=1
	s_andn2_saveexec_b64 s[2:3], s[20:21]
	s_cbranch_execz .LBB0_6
; %bb.5:                                ;   in Loop: Header=BB0_2 Depth=1
	v_cvt_f32_u32_e32 v1, s18
	s_sub_i32 s20, 0, s18
	v_mov_b32_e32 v11, v6
	v_rcp_iflag_f32_e32 v1, v1
	s_nop 0
	v_mul_f32_e32 v1, 0x4f7ffffe, v1
	v_cvt_u32_f32_e32 v1, v1
	v_mul_lo_u32 v3, s20, v1
	v_mul_hi_u32 v3, v1, v3
	v_add_u32_e32 v1, v1, v3
	v_mul_hi_u32 v1, v8, v1
	v_mul_lo_u32 v3, v1, s18
	v_sub_u32_e32 v3, v8, v3
	v_add_u32_e32 v7, 1, v1
	v_subrev_u32_e32 v10, s18, v3
	v_cmp_le_u32_e32 vcc, s18, v3
	s_nop 1
	v_cndmask_b32_e32 v3, v3, v10, vcc
	v_cndmask_b32_e32 v1, v1, v7, vcc
	v_add_u32_e32 v7, 1, v1
	v_cmp_le_u32_e32 vcc, s18, v3
	s_nop 1
	v_cndmask_b32_e32 v10, v1, v7, vcc
.LBB0_6:                                ;   in Loop: Header=BB0_2 Depth=1
	s_or_b64 exec, exec, s[2:3]
	v_mad_u64_u32 v[12:13], s[2:3], v10, s18, 0
	s_load_dwordx2 s[2:3], s[12:13], 0x0
	s_add_u32 s14, s14, 1
	v_mul_lo_u32 v1, v11, s18
	v_mul_lo_u32 v3, v10, s19
	s_addc_u32 s15, s15, 0
	v_add3_u32 v1, v13, v3, v1
	v_sub_co_u32_e32 v3, vcc, v8, v12
	s_add_u32 s12, s12, 8
	s_nop 0
	v_subb_co_u32_e32 v1, vcc, v9, v1, vcc
	s_addc_u32 s13, s13, 0
	v_mov_b64_e32 v[8:9], s[6:7]
	s_waitcnt lgkmcnt(0)
	v_mul_lo_u32 v1, s2, v1
	v_mul_lo_u32 v7, s3, v3
	v_mad_u64_u32 v[4:5], s[2:3], s2, v3, v[4:5]
	s_add_u32 s16, s16, 8
	v_cmp_ge_u64_e32 vcc, s[14:15], v[8:9]
	v_add3_u32 v5, v7, v5, v1
	s_addc_u32 s17, s17, 0
	s_cbranch_vccnz .LBB0_8
; %bb.7:                                ;   in Loop: Header=BB0_2 Depth=1
	v_mov_b64_e32 v[8:9], v[10:11]
	s_branch .LBB0_2
.LBB0_8:
	s_lshl_b64 s[2:3], s[6:7], 3
	s_add_u32 s2, s10, s2
	s_addc_u32 s3, s11, s3
	s_load_dwordx2 s[6:7], s[2:3], 0x0
	s_load_dwordx2 s[10:11], s[0:1], 0x20
	s_mov_b32 s2, 0xccccccd
	s_waitcnt lgkmcnt(0)
	v_mad_u64_u32 v[12:13], s[0:1], s6, v10, v[4:5]
	v_mul_lo_u32 v1, s6, v11
	v_mul_lo_u32 v3, s7, v10
	s_mov_b32 s0, 0xaaaaaaab
	v_add3_u32 v13, v3, v13, v1
	v_mul_hi_u32 v1, v2, s0
	v_lshrrev_b32_e32 v1, 1, v1
	v_lshl_add_u32 v1, v1, 1, v1
	v_sub_u32_e32 v2, v2, v1
	v_mul_hi_u32 v1, v0, s2
	v_mul_u32_u24_e32 v1, 20, v1
	v_sub_u32_e32 v0, v0, v1
	v_cmp_gt_u64_e32 vcc, s[10:11], v[10:11]
	v_cmp_le_u64_e64 s[0:1], s[10:11], v[10:11]
	v_add_u32_e32 v4, 20, v0
	v_add_u32_e32 v6, 40, v0
	;; [unrolled: 1-line block ×3, first 2 shown]
                                        ; implicit-def: $vgpr10
	s_and_saveexec_b64 s[2:3], s[0:1]
	s_xor_b64 s[0:1], exec, s[2:3]
; %bb.9:
	v_mov_b32_e32 v1, 0
	v_add_u32_e32 v4, 20, v0
	v_add_u32_e32 v6, 40, v0
	;; [unrolled: 1-line block ×4, first 2 shown]
	v_mov_b32_e32 v5, v1
	v_mov_b32_e32 v7, v1
	;; [unrolled: 1-line block ×4, first 2 shown]
; %bb.10:
	s_or_saveexec_b64 s[0:1], s[0:1]
	v_mul_u32_u24_e32 v14, 0xc9, v2
	v_lshl_add_u64 v[2:3], v[12:13], 3, s[8:9]
	v_lshlrev_b32_e32 v14, 3, v14
	v_lshlrev_b32_e32 v12, 3, v0
	s_xor_b64 exec, exec, s[0:1]
	s_cbranch_execz .LBB0_12
; %bb.11:
	v_mov_b32_e32 v1, 0
	v_lshl_add_u64 v[10:11], v[0:1], 3, v[2:3]
	global_load_dwordx2 v[16:17], v[10:11], off
	global_load_dwordx2 v[18:19], v[10:11], off offset:160
	global_load_dwordx2 v[20:21], v[10:11], off offset:320
	;; [unrolled: 1-line block ×9, first 2 shown]
	v_add3_u32 v13, 0, v14, v12
	v_add_u32_e32 v10, 0x50, v0
	v_mov_b32_e32 v5, v1
	v_mov_b32_e32 v7, v1
	;; [unrolled: 1-line block ×4, first 2 shown]
	s_waitcnt vmcnt(8)
	ds_write2_b64 v13, v[16:17], v[18:19] offset1:20
	s_waitcnt vmcnt(6)
	ds_write2_b64 v13, v[20:21], v[22:23] offset0:40 offset1:60
	s_waitcnt vmcnt(4)
	ds_write2_b64 v13, v[24:25], v[26:27] offset0:80 offset1:100
	;; [unrolled: 2-line block ×4, first 2 shown]
.LBB0_12:
	s_or_b64 exec, exec, s[0:1]
	v_add_u32_e32 v21, 0, v14
	v_add3_u32 v13, 0, v12, v14
	s_waitcnt lgkmcnt(0)
	; wave barrier
	s_waitcnt lgkmcnt(0)
	v_add_u32_e32 v20, v21, v12
	ds_read2_b64 v[16:19], v13 offset0:20 offset1:40
	ds_read2_b64 v[22:25], v13 offset0:60 offset1:80
	;; [unrolled: 1-line block ×3, first 2 shown]
	ds_read_b64 v[34:35], v20
	ds_read2_b64 v[30:33], v13 offset0:140 offset1:160
	ds_read_b64 v[36:37], v13 offset:1440
	s_mov_b32 s8, 0x3f737871
	s_waitcnt lgkmcnt(3)
	v_pk_add_f32 v[38:39], v[24:25], v[28:29]
	v_pk_add_f32 v[44:45], v[24:25], v[28:29] neg_lo:[0,1] neg_hi:[0,1]
	s_waitcnt lgkmcnt(1)
	v_pk_add_f32 v[40:41], v[18:19], v[32:33] neg_lo:[0,1] neg_hi:[0,1]
	v_pk_fma_f32 v[38:39], v[38:39], 0.5, v[34:35] op_sel_hi:[1,0,1] neg_lo:[1,0,0] neg_hi:[1,0,0]
	v_pk_mul_f32 v[42:43], v[40:41], s[8:9] op_sel_hi:[1,0]
	s_mov_b32 s2, 0x3f167918
	v_pk_add_f32 v[48:49], v[18:19], v[24:25] neg_lo:[0,1] neg_hi:[0,1]
	v_pk_add_f32 v[50:51], v[32:33], v[28:29] neg_lo:[0,1] neg_hi:[0,1]
	v_pk_mul_f32 v[46:47], v[44:45], s[2:3] op_sel_hi:[1,0]
	v_pk_add_f32 v[48:49], v[48:49], v[50:51]
	v_pk_add_f32 v[50:51], v[38:39], v[42:43] op_sel:[0,1] op_sel_hi:[1,0] neg_lo:[0,1] neg_hi:[0,1]
	v_pk_add_f32 v[38:39], v[38:39], v[42:43] op_sel:[0,1] op_sel_hi:[1,0]
	v_pk_add_f32 v[42:43], v[50:51], v[46:47] op_sel:[0,1] op_sel_hi:[1,0] neg_lo:[0,1] neg_hi:[0,1]
	v_pk_add_f32 v[50:51], v[26:27], v[30:31]
	s_waitcnt lgkmcnt(0)
	v_pk_add_f32 v[52:53], v[22:23], v[36:37] neg_lo:[0,1] neg_hi:[0,1]
	v_pk_add_f32 v[58:59], v[22:23], v[26:27] neg_lo:[0,1] neg_hi:[0,1]
	;; [unrolled: 1-line block ×3, first 2 shown]
	v_pk_fma_f32 v[50:51], v[50:51], 0.5, v[16:17] op_sel_hi:[1,0,1] neg_lo:[1,0,0] neg_hi:[1,0,0]
	v_pk_mul_f32 v[54:55], v[52:53], s[8:9] op_sel_hi:[1,0]
	v_pk_add_f32 v[58:59], v[58:59], v[60:61]
	v_pk_add_f32 v[60:61], v[26:27], v[30:31] neg_lo:[0,1] neg_hi:[0,1]
	v_pk_add_f32 v[38:39], v[38:39], v[46:47] op_sel:[0,1] op_sel_hi:[1,0]
	v_pk_add_f32 v[56:57], v[50:51], v[54:55] op_sel:[0,1] op_sel_hi:[1,0]
	v_pk_add_f32 v[50:51], v[50:51], v[54:55] op_sel:[0,1] op_sel_hi:[1,0] neg_lo:[0,1] neg_hi:[0,1]
	v_pk_mul_f32 v[54:55], v[60:61], s[2:3] op_sel_hi:[1,0]
	s_mov_b32 s6, 0x3e9e377a
	v_mov_b32_e32 v46, v42
	v_mov_b32_e32 v47, v39
	v_pk_add_f32 v[56:57], v[54:55], v[56:57] op_sel:[1,0] op_sel_hi:[0,1]
	v_pk_add_f32 v[50:51], v[50:51], v[54:55] op_sel:[0,1] op_sel_hi:[1,0] neg_lo:[0,1] neg_hi:[0,1]
	v_pk_fma_f32 v[46:47], v[48:49], s[6:7], v[46:47] op_sel_hi:[1,0,1]
	v_pk_fma_f32 v[54:55], v[58:59], s[6:7], v[56:57] op_sel_hi:[1,0,1]
	s_mov_b32 s7, s2
	v_mov_b32_e32 v56, v50
	v_pk_fma_f32 v[56:57], v[58:59], s[6:7], v[56:57] op_sel_hi:[1,0,1]
	s_mov_b32 s10, 0x3f4f1bbd
	v_pk_mul_f32 v[62:63], v[56:57], s[2:3] op_sel_hi:[1,0]
	s_movk_i32 s0, 0x48
	v_pk_fma_f32 v[64:65], v[56:57], s[10:11], v[62:63] op_sel:[0,0,1] op_sel_hi:[1,0,0] neg_lo:[0,0,1] neg_hi:[0,0,1]
	v_pk_fma_f32 v[56:57], v[56:57], s[10:11], v[62:63] op_sel:[0,0,1] op_sel_hi:[1,0,0]
	v_pk_add_f32 v[62:63], v[16:17], v[22:23]
	v_mov_b32_e32 v65, v57
	v_pk_add_f32 v[56:57], v[34:35], v[18:19]
	v_pk_add_f32 v[62:63], v[62:63], v[26:27]
	;; [unrolled: 1-line block ×7, first 2 shown]
	v_mad_u32_u24 v15, v0, s0, v13
	v_pk_add_f32 v[66:67], v[56:57], v[62:63]
	v_pk_add_f32 v[68:69], v[46:47], v[64:65]
	s_waitcnt lgkmcnt(0)
	; wave barrier
	ds_write2_b64 v15, v[66:67], v[68:69] offset1:1
	v_mov_b32_e32 v66, v26
	v_mov_b32_e32 v67, v30
	;; [unrolled: 1-line block ×4, first 2 shown]
	v_pk_add_f32 v[66:67], v[66:67], v[68:69] neg_lo:[0,1] neg_hi:[0,1]
	v_mov_b32_e32 v30, v23
	v_mov_b32_e32 v26, v67
	v_pk_add_f32 v[66:67], v[66:67], v[26:27]
	v_mov_b32_e32 v26, v27
	v_mov_b32_e32 v27, v31
	;; [unrolled: 1-line block ×3, first 2 shown]
	v_pk_add_f32 v[26:27], v[26:27], v[30:31] neg_lo:[0,1] neg_hi:[0,1]
	v_pk_add_f32 v[22:23], v[22:23], v[36:37]
	v_mov_b32_e32 v30, v27
	v_pk_add_f32 v[26:27], v[26:27], v[30:31]
	v_mov_b32_e32 v67, v53
	v_fma_f32 v36, -0.5, v22, v16
	v_mov_b32_e32 v27, v52
	v_fma_f32 v37, -0.5, v23, v17
	v_fmamk_f32 v39, v61, 0x3f737871, v36
	v_fmac_f32_e32 v36, 0xbf737871, v61
	v_pk_mul_f32 v[22:23], v[66:67], s[6:7]
	v_fmamk_f32 v42, v60, 0xbf737871, v37
	v_pk_add_f32 v[16:17], v[24:25], v[18:19] neg_lo:[0,1] neg_hi:[0,1]
	v_pk_add_f32 v[18:19], v[18:19], v[32:33]
	v_sub_f32_e32 v24, v39, v23
	v_add_f32_e32 v23, v23, v36
	v_pk_mul_f32 v[26:27], v[26:27], s[6:7]
	v_pk_add_f32 v[28:29], v[28:29], v[32:33] neg_lo:[0,1] neg_hi:[0,1]
	v_fmac_f32_e32 v37, 0x3f737871, v60
	v_add_f32_e32 v24, v22, v24
	v_add_f32_e32 v22, v22, v23
	;; [unrolled: 1-line block ×3, first 2 shown]
	v_pk_fma_f32 v[18:19], v[18:19], 0.5, v[34:35] op_sel_hi:[1,0,1] neg_lo:[1,0,0] neg_hi:[1,0,0]
	v_pk_add_f32 v[16:17], v[16:17], v[28:29]
	v_pk_mul_f32 v[28:29], v[44:45], s[8:9] op_sel_hi:[1,0]
	v_sub_f32_e32 v25, v37, v27
	v_add_f32_e32 v36, v26, v23
	v_pk_mul_f32 v[32:33], v[40:41], s[2:3] op_sel_hi:[1,0]
	v_pk_add_f32 v[34:35], v[18:19], v[28:29] op_sel:[0,1] op_sel_hi:[1,0]
	v_pk_add_f32 v[18:19], v[18:19], v[28:29] op_sel:[0,1] op_sel_hi:[1,0] neg_lo:[0,1] neg_hi:[0,1]
	s_mov_b32 s9, s6
	v_add_f32_e32 v26, v26, v25
	v_pk_add_f32 v[18:19], v[18:19], v[32:33] op_sel:[0,1] op_sel_hi:[1,0]
	v_pk_add_f32 v[28:29], v[34:35], v[32:33] op_sel:[0,1] op_sel_hi:[1,0] neg_lo:[0,1] neg_hi:[0,1]
	s_mov_b32 s14, s6
	s_mov_b32 s15, s8
	v_pk_mul_f32 v[34:35], v[36:37], s[8:9] op_sel_hi:[0,1]
	v_mov_b32_e32 v32, v28
	v_mov_b32_e32 v33, v19
	v_pk_fma_f32 v[36:37], v[24:25], s[14:15], v[34:35] neg_lo:[0,0,1] neg_hi:[0,0,1]
	v_pk_fma_f32 v[24:25], v[24:25], s[14:15], v[34:35] op_sel_hi:[0,1,1]
	s_mov_b32 s12, 0xbe9e377a
	s_mov_b32 s13, s8
	v_pk_mul_f32 v[26:27], v[26:27], s[8:9] op_sel_hi:[0,1]
	v_mov_b32_e32 v19, v29
	v_pk_fma_f32 v[32:33], v[16:17], s[6:7], v[32:33] op_sel_hi:[1,0,1]
	v_mov_b32_e32 v37, v25
	v_pk_fma_f32 v[22:23], v[22:23], s[12:13], v[26:27] op_sel_hi:[0,1,1] neg_lo:[0,0,1] neg_hi:[0,0,1]
	v_pk_fma_f32 v[16:17], v[16:17], s[6:7], v[18:19] op_sel_hi:[1,0,1]
	v_pk_fma_f32 v[30:31], v[58:59], s[6:7], v[50:51] op_sel_hi:[1,0,1]
	v_pk_add_f32 v[24:25], v[32:33], v[36:37]
	v_pk_add_f32 v[18:19], v[16:17], v[22:23]
	s_mov_b32 s3, s10
	ds_write2_b64 v15, v[24:25], v[18:19] offset0:2 offset1:3
	v_mov_b32_e32 v39, v43
	s_mov_b32 s16, 0xbf4f1bbd
	s_mov_b32 s17, s2
	v_pk_mul_f32 v[24:25], v[30:31], s[2:3] op_sel:[1,0]
	v_pk_fma_f32 v[18:19], v[48:49], s[6:7], v[38:39] op_sel_hi:[1,0,1]
	v_pk_fma_f32 v[24:25], v[54:55], s[16:17], v[24:25] op_sel_hi:[0,1,1] neg_lo:[0,0,1] neg_hi:[0,0,1]
	v_pk_add_f32 v[26:27], v[18:19], v[24:25]
	v_pk_add_f32 v[28:29], v[56:57], v[62:63] neg_lo:[0,1] neg_hi:[0,1]
	ds_write2_b64 v15, v[26:27], v[28:29] offset0:4 offset1:5
	v_pk_add_f32 v[26:27], v[46:47], v[64:65] neg_lo:[0,1] neg_hi:[0,1]
	v_pk_add_f32 v[28:29], v[32:33], v[36:37] neg_lo:[0,1] neg_hi:[0,1]
	;; [unrolled: 1-line block ×4, first 2 shown]
	ds_write2_b64 v15, v[26:27], v[28:29] offset0:6 offset1:7
	ds_write2_b64 v15, v[16:17], v[18:19] offset0:8 offset1:9
	v_add_u32_e32 v15, -10, v0
	v_cmp_gt_u32_e64 s[0:1], 10, v0
	v_mov_b32_e32 v17, 0
	s_waitcnt lgkmcnt(0)
	v_cndmask_b32_e64 v15, v15, v0, s[0:1]
	v_mul_i32_i24_e32 v16, 9, v15
	v_lshl_add_u64 v[22:23], v[16:17], 3, s[4:5]
	; wave barrier
	global_load_dwordx4 v[16:19], v[22:23], off offset:32
	global_load_dwordx4 v[26:29], v[22:23], off
	global_load_dwordx4 v[30:33], v[22:23], off offset:16
	global_load_dwordx4 v[34:37], v[22:23], off offset:48
	global_load_dwordx2 v[42:43], v[22:23], off offset:64
	v_lshl_add_u32 v23, v8, 3, v21
	v_lshl_add_u32 v22, v10, 3, v21
	ds_read_b64 v[44:45], v23
	ds_read_b64 v[46:47], v22
	ds_read2_b64 v[38:41], v13 offset0:100 offset1:120
	v_mov_b32_e32 v48, 0x320
	v_cmp_lt_u32_e64 s[0:1], 9, v0
	v_lshlrev_b32_e32 v15, 3, v15
	v_lshl_add_u32 v24, v6, 3, v21
	v_cndmask_b32_e64 v48, 0, v48, s[0:1]
	v_add_u32_e32 v48, 0, v48
	v_add3_u32 v76, v48, v15, v14
	v_lshl_add_u32 v25, v4, 3, v21
	ds_read_b64 v[48:49], v20
	s_mov_b32 s11, s2
	v_lshl_add_u64 v[10:11], v[10:11], 3, s[4:5]
	v_lshl_add_u64 v[8:9], v[8:9], 3, s[4:5]
	v_lshl_add_u64 v[6:7], v[6:7], 3, s[4:5]
	v_lshl_add_u64 v[4:5], v[4:5], 3, s[4:5]
	v_cmp_ne_u32_e64 s[0:1], 0, v0
	s_waitcnt vmcnt(4) lgkmcnt(1)
	v_pk_mul_f32 v[14:15], v[16:17], v[38:39] op_sel:[0,1]
	s_nop 0
	v_pk_fma_f32 v[50:51], v[16:17], v[38:39], v[14:15] op_sel:[0,0,1] op_sel_hi:[1,1,0]
	v_pk_fma_f32 v[38:39], v[16:17], v[38:39], v[14:15] op_sel:[0,0,1] op_sel_hi:[1,0,0] neg_lo:[1,0,0] neg_hi:[1,0,0]
	ds_read_b64 v[16:17], v24
	ds_read_b64 v[52:53], v25
	v_mov_b32_e32 v14, v19
	v_pk_mul_f32 v[14:15], v[40:41], v[14:15] op_sel_hi:[1,0]
	v_mov_b32_e32 v51, v39
	v_pk_fma_f32 v[54:55], v[40:41], v[18:19], v[14:15] op_sel:[0,0,1] op_sel_hi:[1,1,0]
	v_pk_fma_f32 v[18:19], v[40:41], v[18:19], v[14:15] op_sel:[0,0,1] op_sel_hi:[1,0,0] neg_lo:[0,0,1] neg_hi:[0,0,1]
	s_waitcnt vmcnt(3) lgkmcnt(0)
	v_pk_mul_f32 v[14:15], v[26:27], v[52:53] op_sel:[0,1]
	ds_read_b64 v[40:41], v13 offset:1440
	v_pk_fma_f32 v[56:57], v[26:27], v[52:53], v[14:15] op_sel:[0,0,1] op_sel_hi:[1,0,0]
	v_pk_fma_f32 v[26:27], v[26:27], v[52:53], v[14:15] op_sel:[0,0,1] op_sel_hi:[1,0,0] neg_lo:[1,0,0] neg_hi:[1,0,0]
	v_pk_mul_f32 v[14:15], v[28:29], v[16:17] op_sel:[0,1]
	v_mov_b32_e32 v55, v19
	v_pk_fma_f32 v[52:53], v[28:29], v[16:17], v[14:15] op_sel:[0,0,1] op_sel_hi:[1,1,0]
	v_pk_fma_f32 v[28:29], v[28:29], v[16:17], v[14:15] op_sel:[0,0,1] op_sel_hi:[1,0,0] neg_lo:[1,0,0] neg_hi:[1,0,0]
	s_waitcnt vmcnt(2)
	v_pk_mul_f32 v[14:15], v[30:31], v[44:45] op_sel:[0,1]
	v_mov_b32_e32 v53, v29
	v_pk_fma_f32 v[58:59], v[30:31], v[44:45], v[14:15] op_sel:[0,0,1] op_sel_hi:[1,1,0]
	v_pk_fma_f32 v[30:31], v[30:31], v[44:45], v[14:15] op_sel:[0,0,1] op_sel_hi:[1,0,0] neg_lo:[1,0,0] neg_hi:[1,0,0]
	v_pk_mul_f32 v[14:15], v[32:33], v[46:47] op_sel:[0,1]
	v_mov_b32_e32 v57, v27
	v_pk_fma_f32 v[44:45], v[32:33], v[46:47], v[14:15] op_sel:[0,0,1] op_sel_hi:[1,1,0]
	v_pk_fma_f32 v[32:33], v[32:33], v[46:47], v[14:15] op_sel:[0,0,1] op_sel_hi:[1,0,0] neg_lo:[1,0,0] neg_hi:[1,0,0]
	ds_read2_b64 v[14:17], v13 offset0:140 offset1:160
	v_mov_b32_e32 v45, v33
	v_mov_b32_e32 v59, v31
	v_pk_add_f32 v[46:47], v[56:57], v[58:59]
	s_waitcnt vmcnt(1) lgkmcnt(0)
	v_pk_mul_f32 v[18:19], v[14:15], v[34:35] op_sel:[0,1]
	v_pk_add_f32 v[46:47], v[46:47], v[50:51]
	v_pk_fma_f32 v[28:29], v[14:15], v[34:35], v[18:19] op_sel:[0,0,1] op_sel_hi:[1,1,0]
	v_pk_fma_f32 v[14:15], v[14:15], v[34:35], v[18:19] op_sel:[0,0,1] op_sel_hi:[1,0,0] neg_lo:[0,0,1] neg_hi:[0,0,1]
	; wave barrier
	s_nop 0
	v_mov_b32_e32 v14, v37
	v_pk_mul_f32 v[18:19], v[16:17], v[14:15] op_sel_hi:[1,0]
	v_mov_b32_e32 v29, v15
	v_pk_fma_f32 v[32:33], v[16:17], v[36:37], v[18:19] op_sel:[0,0,1] op_sel_hi:[1,1,0]
	v_pk_fma_f32 v[16:17], v[16:17], v[36:37], v[18:19] op_sel:[0,0,1] op_sel_hi:[1,0,0] neg_lo:[0,0,1] neg_hi:[0,0,1]
	v_mov_b32_e32 v36, v58
	v_mov_b32_e32 v33, v17
	s_waitcnt vmcnt(0)
	v_pk_mul_f32 v[16:17], v[40:41], v[42:43] op_sel:[0,1]
	v_pk_add_f32 v[34:35], v[50:51], v[28:29]
	v_pk_fma_f32 v[18:19], v[40:41], v[42:43], v[16:17] op_sel:[0,0,1] op_sel_hi:[1,1,0]
	v_pk_fma_f32 v[16:17], v[40:41], v[42:43], v[16:17] op_sel:[0,0,1] op_sel_hi:[1,0,0] neg_lo:[0,0,1] neg_hi:[0,0,1]
	v_mov_b32_e32 v37, v18
	v_mov_b32_e32 v40, v50
	;; [unrolled: 1-line block ×3, first 2 shown]
	v_pk_add_f32 v[42:43], v[36:37], v[40:41] neg_lo:[0,1] neg_hi:[0,1]
	v_mov_b32_e32 v16, v31
	v_mov_b32_e32 v14, v43
	v_pk_add_f32 v[42:43], v[42:43], v[14:15]
	v_mov_b32_e32 v14, v39
	v_pk_add_f32 v[50:51], v[50:51], v[28:29] neg_lo:[0,1] neg_hi:[0,1]
	v_pk_add_f32 v[30:31], v[16:17], v[14:15] neg_lo:[0,1] neg_hi:[0,1]
	v_mov_b32_e32 v19, v17
	v_mov_b32_e32 v26, v31
	;; [unrolled: 1-line block ×3, first 2 shown]
	v_pk_add_f32 v[28:29], v[46:47], v[28:29]
	v_pk_add_f32 v[30:31], v[30:31], v[26:27]
	v_pk_add_f32 v[38:39], v[52:53], v[44:45] neg_lo:[0,1] neg_hi:[0,1]
	v_pk_add_f32 v[46:47], v[32:33], v[54:55] neg_lo:[0,1] neg_hi:[0,1]
	v_fma_f32 v57, -0.5, v34, v56
	v_fma_f32 v77, -0.5, v35, v27
	v_pk_mul_f32 v[34:35], v[42:43], s[6:7]
	v_pk_add_f32 v[42:43], v[58:59], v[18:19] neg_lo:[0,1] neg_hi:[0,1]
	v_pk_add_f32 v[38:39], v[38:39], v[46:47]
	v_pk_add_f32 v[46:47], v[44:45], v[54:55]
	v_pk_add_f32 v[60:61], v[52:53], v[32:33] neg_lo:[0,1] neg_hi:[0,1]
	v_fmamk_f32 v26, v43, 0xbf737871, v57
	v_mov_b32_e32 v31, v50
	v_pk_fma_f32 v[46:47], v[46:47], 0.5, v[48:49] op_sel_hi:[1,0,1] neg_lo:[1,0,0] neg_hi:[1,0,0]
	v_pk_mul_f32 v[62:63], v[60:61], s[8:9] op_sel_hi:[1,0]
	v_sub_f32_e32 v68, v26, v35
	v_pk_mul_f32 v[30:31], v[30:31], s[6:7]
	v_fmamk_f32 v26, v42, 0x3f737871, v77
	v_pk_add_f32 v[64:65], v[46:47], v[62:63] op_sel:[0,1] op_sel_hi:[1,0] neg_lo:[0,1] neg_hi:[0,1]
	v_pk_add_f32 v[46:47], v[46:47], v[62:63] op_sel:[0,1] op_sel_hi:[1,0]
	v_pk_add_f32 v[62:63], v[44:45], v[54:55] neg_lo:[0,1] neg_hi:[0,1]
	v_add_f32_e32 v26, v31, v26
	v_pk_mul_f32 v[66:67], v[62:63], s[2:3] op_sel_hi:[1,0]
	v_add_f32_e32 v26, v30, v26
	v_pk_add_f32 v[46:47], v[46:47], v[66:67] op_sel:[0,1] op_sel_hi:[1,0]
	v_pk_add_f32 v[64:65], v[64:65], v[66:67] op_sel:[0,1] op_sel_hi:[1,0] neg_lo:[0,1] neg_hi:[0,1]
	v_pk_mul_f32 v[66:67], v[26:27], s[2:3] op_sel_hi:[0,1]
	v_add_f32_e32 v26, v34, v68
	v_pk_add_f32 v[36:37], v[40:41], v[36:37] neg_lo:[0,1] neg_hi:[0,1]
	v_pk_fma_f32 v[68:69], v[26:27], s[10:11], v[66:67] neg_lo:[0,0,1] neg_hi:[0,0,1]
	v_pk_fma_f32 v[66:67], v[26:27], s[10:11], v[66:67] op_sel_hi:[0,1,1]
	v_mov_b32_e32 v26, v37
	v_pk_add_f32 v[28:29], v[28:29], v[18:19]
	v_pk_add_f32 v[18:19], v[58:59], v[18:19]
	;; [unrolled: 1-line block ×3, first 2 shown]
	v_mov_b32_e32 v26, v56
	v_pk_add_f32 v[14:15], v[14:15], v[16:17] neg_lo:[0,1] neg_hi:[0,1]
	v_fmac_f32_e32 v57, 0x3f737871, v43
	v_fmac_f32_e32 v26, -0.5, v18
	v_mov_b32_e32 v16, v15
	v_mov_b32_e32 v37, v43
	v_add_f32_e32 v18, v35, v57
	v_fmac_f32_e32 v27, -0.5, v19
	v_pk_add_f32 v[14:15], v[14:15], v[16:17]
	v_fmamk_f32 v19, v51, 0x3f737871, v26
	v_add_f32_e32 v18, v34, v18
	v_pk_mul_f32 v[34:35], v[36:37], s[6:7]
	v_fmac_f32_e32 v77, 0xbf737871, v42
	v_mov_b32_e32 v15, v42
	v_fmac_f32_e32 v26, 0xbf737871, v51
	v_sub_f32_e32 v19, v19, v35
	v_mov_b32_e32 v69, v67
	v_pk_add_f32 v[66:67], v[48:49], v[52:53]
	v_fmamk_f32 v40, v50, 0xbf737871, v27
	v_add_f32_e32 v35, v35, v26
	v_add_f32_e32 v26, v34, v19
	v_sub_f32_e32 v19, v77, v31
	v_pk_mul_f32 v[14:15], v[14:15], s[6:7]
	v_pk_add_f32 v[66:67], v[66:67], v[44:45]
	v_add_f32_e32 v30, v30, v19
	v_add_f32_e32 v19, v15, v40
	v_pk_add_f32 v[66:67], v[66:67], v[54:55]
	v_add_f32_e32 v36, v14, v19
	v_pk_add_f32 v[66:67], v[66:67], v[32:33]
	v_fmac_f32_e32 v27, 0x3f737871, v50
	v_pk_add_f32 v[16:17], v[52:53], v[32:33]
	v_pk_add_f32 v[40:41], v[44:45], v[52:53] neg_lo:[0,1] neg_hi:[0,1]
	v_pk_add_f32 v[32:33], v[54:55], v[32:33] neg_lo:[0,1] neg_hi:[0,1]
	v_pk_mul_f32 v[36:37], v[36:37], s[8:9] op_sel_hi:[0,1]
	v_sub_f32_e32 v15, v27, v15
	v_pk_add_f32 v[32:33], v[40:41], v[32:33]
	v_pk_fma_f32 v[40:41], v[26:27], s[14:15], v[36:37] neg_lo:[0,0,1] neg_hi:[0,0,1]
	v_pk_fma_f32 v[26:27], v[26:27], s[14:15], v[36:37] op_sel_hi:[0,1,1]
	v_pk_fma_f32 v[16:17], v[16:17], 0.5, v[48:49] op_sel_hi:[1,0,1] neg_lo:[1,0,0] neg_hi:[1,0,0]
	v_mov_b32_e32 v41, v27
	v_pk_mul_f32 v[26:27], v[62:63], s[8:9] op_sel_hi:[1,0]
	v_pk_mul_f32 v[36:37], v[60:61], s[2:3] op_sel_hi:[1,0]
	v_pk_add_f32 v[42:43], v[16:17], v[26:27] op_sel:[0,1] op_sel_hi:[1,0]
	v_pk_add_f32 v[16:17], v[16:17], v[26:27] op_sel:[0,1] op_sel_hi:[1,0] neg_lo:[0,1] neg_hi:[0,1]
	v_add_f32_e32 v14, v14, v15
	v_pk_add_f32 v[16:17], v[16:17], v[36:37] op_sel:[0,1] op_sel_hi:[1,0]
	v_pk_add_f32 v[26:27], v[42:43], v[36:37] op_sel:[0,1] op_sel_hi:[1,0] neg_lo:[0,1] neg_hi:[0,1]
	v_add_f32_e32 v34, v34, v35
	v_mov_b32_e32 v36, v26
	v_mov_b32_e32 v37, v17
	v_pk_mul_f32 v[14:15], v[14:15], s[8:9] op_sel_hi:[0,1]
	v_mov_b32_e32 v17, v27
	v_pk_fma_f32 v[36:37], v[32:33], s[6:7], v[36:37] op_sel_hi:[1,0,1]
	v_pk_fma_f32 v[14:15], v[34:35], s[12:13], v[14:15] op_sel_hi:[0,1,1] neg_lo:[0,0,1] neg_hi:[0,0,1]
	v_pk_fma_f32 v[16:17], v[32:33], s[6:7], v[16:17] op_sel_hi:[1,0,1]
	v_pk_add_f32 v[42:43], v[36:37], v[40:41]
	v_pk_add_f32 v[26:27], v[16:17], v[14:15]
	v_mov_b32_e32 v71, v47
	ds_write2_b64 v76, v[42:43], v[26:27] offset0:20 offset1:30
	v_pk_mul_f32 v[26:27], v[30:31], s[2:3] op_sel_hi:[0,1]
	v_mov_b32_e32 v47, v65
	v_mov_b32_e32 v70, v64
	v_pk_fma_f32 v[18:19], v[18:19], s[16:17], v[26:27] op_sel_hi:[0,1,1] neg_lo:[0,0,1] neg_hi:[0,0,1]
	v_pk_fma_f32 v[26:27], v[38:39], s[6:7], v[46:47] op_sel_hi:[1,0,1]
	v_pk_fma_f32 v[70:71], v[38:39], s[6:7], v[70:71] op_sel_hi:[1,0,1]
	v_pk_add_f32 v[72:73], v[66:67], v[28:29]
	v_pk_add_f32 v[30:31], v[26:27], v[18:19]
	v_pk_add_f32 v[28:29], v[66:67], v[28:29] neg_lo:[0,1] neg_hi:[0,1]
	v_pk_add_f32 v[74:75], v[70:71], v[68:69]
	ds_write2_b64 v76, v[30:31], v[28:29] offset0:40 offset1:50
	v_pk_add_f32 v[28:29], v[70:71], v[68:69] neg_lo:[0,1] neg_hi:[0,1]
	v_pk_add_f32 v[30:31], v[36:37], v[40:41] neg_lo:[0,1] neg_hi:[0,1]
	;; [unrolled: 1-line block ×4, first 2 shown]
	ds_write2_b64 v76, v[72:73], v[74:75] offset1:10
	ds_write2_b64 v76, v[28:29], v[30:31] offset0:60 offset1:70
	ds_write2_b64 v76, v[14:15], v[16:17] offset0:80 offset1:90
	s_waitcnt lgkmcnt(0)
	; wave barrier
	s_waitcnt lgkmcnt(0)
	global_load_dwordx2 v[14:15], v[10:11], off offset:720
	global_load_dwordx2 v[18:19], v[8:9], off offset:720
	;; [unrolled: 1-line block ×4, first 2 shown]
	v_lshl_add_u64 v[16:17], v[0:1], 3, s[4:5]
	global_load_dwordx2 v[38:39], v[16:17], off offset:720
	ds_read_b64 v[40:41], v23
	ds_read_b64 v[42:43], v24
	;; [unrolled: 1-line block ×3, first 2 shown]
	ds_read_b64 v[46:47], v13 offset:1440
	ds_read_b64 v[48:49], v20
	ds_read2_b64 v[26:29], v13 offset0:100 offset1:120
	ds_read2_b64 v[30:33], v13 offset0:140 offset1:160
	ds_read_b64 v[50:51], v22
	s_waitcnt lgkmcnt(0)
	; wave barrier
	s_waitcnt lgkmcnt(0)
	v_sub_u32_e32 v1, v21, v12
	s_waitcnt vmcnt(4)
	v_pk_mul_f32 v[52:53], v[14:15], v[46:47] op_sel:[0,1]
	s_nop 0
	v_pk_fma_f32 v[54:55], v[14:15], v[46:47], v[52:53] op_sel:[0,0,1] op_sel_hi:[1,1,0]
	v_pk_fma_f32 v[14:15], v[14:15], v[46:47], v[52:53] op_sel:[0,0,1] op_sel_hi:[1,0,0] neg_lo:[1,0,0] neg_hi:[1,0,0]
	s_nop 0
	v_mov_b32_e32 v55, v15
	v_pk_add_f32 v[14:15], v[50:51], v[54:55] neg_lo:[0,1] neg_hi:[0,1]
	s_nop 0
	v_pk_fma_f32 v[46:47], v[50:51], 2.0, v[14:15] op_sel_hi:[1,0,1] neg_lo:[0,0,1] neg_hi:[0,0,1]
	s_waitcnt vmcnt(3)
	v_pk_mul_f32 v[50:51], v[18:19], v[32:33] op_sel:[0,1]
	s_nop 0
	v_pk_fma_f32 v[52:53], v[18:19], v[32:33], v[50:51] op_sel:[0,0,1] op_sel_hi:[1,1,0]
	v_pk_fma_f32 v[18:19], v[18:19], v[32:33], v[50:51] op_sel:[0,0,1] op_sel_hi:[1,0,0] neg_lo:[1,0,0] neg_hi:[1,0,0]
	s_nop 0
	v_mov_b32_e32 v53, v19
	v_pk_add_f32 v[18:19], v[40:41], v[52:53] neg_lo:[0,1] neg_hi:[0,1]
	s_nop 0
	v_pk_fma_f32 v[32:33], v[40:41], 2.0, v[18:19] op_sel_hi:[1,0,1] neg_lo:[0,0,1] neg_hi:[0,0,1]
	s_waitcnt vmcnt(2)
	v_pk_mul_f32 v[40:41], v[34:35], v[30:31] op_sel:[0,1]
	s_nop 0
	v_pk_fma_f32 v[50:51], v[34:35], v[30:31], v[40:41] op_sel:[0,0,1] op_sel_hi:[1,1,0]
	v_pk_fma_f32 v[30:31], v[34:35], v[30:31], v[40:41] op_sel:[0,0,1] op_sel_hi:[1,0,0] neg_lo:[1,0,0] neg_hi:[1,0,0]
	s_waitcnt vmcnt(1)
	v_pk_mul_f32 v[40:41], v[36:37], v[28:29] op_sel:[0,1]
	v_mov_b32_e32 v51, v31
	v_pk_add_f32 v[30:31], v[42:43], v[50:51] neg_lo:[0,1] neg_hi:[0,1]
	s_nop 0
	v_pk_fma_f32 v[34:35], v[42:43], 2.0, v[30:31] op_sel_hi:[1,0,1] neg_lo:[0,0,1] neg_hi:[0,0,1]
	v_pk_fma_f32 v[42:43], v[36:37], v[28:29], v[40:41] op_sel:[0,0,1] op_sel_hi:[1,1,0]
	v_pk_fma_f32 v[28:29], v[36:37], v[28:29], v[40:41] op_sel:[0,0,1] op_sel_hi:[1,0,0] neg_lo:[1,0,0] neg_hi:[1,0,0]
	s_waitcnt vmcnt(0)
	v_pk_mul_f32 v[40:41], v[38:39], v[26:27] op_sel:[0,1]
	v_mov_b32_e32 v43, v29
	v_pk_add_f32 v[28:29], v[44:45], v[42:43] neg_lo:[0,1] neg_hi:[0,1]
	v_pk_fma_f32 v[42:43], v[38:39], v[26:27], v[40:41] op_sel:[0,0,1] op_sel_hi:[1,1,0]
	v_pk_fma_f32 v[26:27], v[38:39], v[26:27], v[40:41] op_sel:[0,0,1] op_sel_hi:[1,0,0] neg_lo:[1,0,0] neg_hi:[1,0,0]
	v_pk_fma_f32 v[36:37], v[44:45], 2.0, v[28:29] op_sel_hi:[1,0,1] neg_lo:[0,0,1] neg_hi:[0,0,1]
	v_mov_b32_e32 v43, v27
	v_pk_add_f32 v[26:27], v[48:49], v[42:43] neg_lo:[0,1] neg_hi:[0,1]
	s_nop 0
	v_pk_fma_f32 v[38:39], v[48:49], 2.0, v[26:27] op_sel_hi:[1,0,1] neg_lo:[0,0,1] neg_hi:[0,0,1]
	ds_write2_b64 v13, v[38:39], v[26:27] offset1:100
	ds_write2_b64 v25, v[36:37], v[28:29] offset1:100
	;; [unrolled: 1-line block ×5, first 2 shown]
	s_waitcnt lgkmcnt(0)
	; wave barrier
	s_waitcnt lgkmcnt(0)
	ds_read_b64 v[18:19], v20
                                        ; implicit-def: $vgpr13
                                        ; implicit-def: $vgpr14_vgpr15
	s_and_saveexec_b64 s[2:3], s[0:1]
	s_xor_b64 s[0:1], exec, s[2:3]
	s_cbranch_execz .LBB0_14
; %bb.13:
	global_load_dwordx2 v[14:15], v[16:17], off offset:1520
	ds_read_b64 v[12:13], v1 offset:1600
	v_mov_b32_e32 v17, 0.5
	v_mov_b32_e32 v26, v17
                                        ; implicit-def: $vgpr21
	s_waitcnt lgkmcnt(0)
	v_pk_add_f32 v[28:29], v[12:13], v[18:19]
	v_pk_add_f32 v[12:13], v[18:19], v[12:13] neg_lo:[0,1] neg_hi:[0,1]
	v_mov_b32_e32 v18, v29
	v_mov_b32_e32 v19, v12
	v_pk_mul_f32 v[18:19], v[18:19], 0.5 op_sel_hi:[1,0]
	s_waitcnt vmcnt(0)
	v_mov_b32_e32 v16, v15
	v_mov_b32_e32 v12, v19
	;; [unrolled: 1-line block ×4, first 2 shown]
	v_pk_mul_f32 v[12:13], v[16:17], v[12:13]
	v_pk_mul_f32 v[30:31], v[14:15], v[18:19] op_sel_hi:[0,1]
	v_pk_fma_f32 v[16:17], v[28:29], v[26:27], v[12:13]
	v_pk_fma_f32 v[26:27], v[28:29], v[26:27], v[12:13] neg_lo:[0,0,1] neg_hi:[0,0,1]
	v_pk_fma_f32 v[12:13], v[14:15], v[18:19], v[16:17] op_sel_hi:[0,1,1] neg_lo:[1,0,0] neg_hi:[1,0,0]
	v_pk_fma_f32 v[14:15], v[14:15], v[18:19], v[26:27] op_sel_hi:[0,1,1] neg_lo:[1,0,0] neg_hi:[1,0,0]
	v_add_f32_e32 v12, v16, v30
                                        ; implicit-def: $vgpr18_vgpr19
.LBB0_14:
	s_andn2_saveexec_b64 s[0:1], s[0:1]
	s_cbranch_execz .LBB0_16
; %bb.15:
	ds_read_b32 v13, v21 offset:804
	s_waitcnt lgkmcnt(1)
	v_mov_b32_e32 v14, v19
	v_pk_add_f32 v[14:15], v[18:19], v[14:15] neg_lo:[0,1] neg_hi:[0,1]
	v_add_f32_e32 v12, v19, v18
	v_mov_b32_e32 v15, 0
	s_waitcnt lgkmcnt(0)
	v_xor_b32_e32 v13, 0x80000000, v13
	ds_write_b32 v21, v13 offset:804
	v_mov_b32_e32 v13, v15
.LBB0_16:
	s_or_b64 exec, exec, s[0:1]
	global_load_dwordx2 v[16:17], v[4:5], off offset:1520
	s_waitcnt lgkmcnt(0)
	global_load_dwordx2 v[18:19], v[6:7], off offset:1520
	global_load_dwordx2 v[26:27], v[8:9], off offset:1520
	;; [unrolled: 1-line block ×3, first 2 shown]
	ds_write_b64 v20, v[12:13]
	ds_write_b64 v1, v[14:15] offset:1600
	ds_read_b64 v[4:5], v25
	ds_read_b64 v[6:7], v1 offset:1440
	v_mov_b32_e32 v9, 0.5
	v_mov_b32_e32 v10, v9
	s_waitcnt lgkmcnt(0)
	v_pk_add_f32 v[12:13], v[4:5], v[6:7]
	v_pk_add_f32 v[4:5], v[4:5], v[6:7] neg_lo:[0,1] neg_hi:[0,1]
	v_mov_b32_e32 v6, v13
	v_mov_b32_e32 v7, v4
	v_pk_mul_f32 v[6:7], v[6:7], 0.5 op_sel_hi:[1,0]
	s_waitcnt vmcnt(3)
	v_mov_b32_e32 v11, v17
	v_mov_b32_e32 v13, v6
	;; [unrolled: 1-line block ×4, first 2 shown]
	v_pk_mul_f32 v[10:11], v[12:13], v[10:11]
	s_nop 0
	v_pk_fma_f32 v[12:13], v[8:9], v[4:5], v[10:11] neg_lo:[1,0,0] neg_hi:[1,0,0]
	v_pk_fma_f32 v[4:5], v[8:9], v[4:5], v[10:11]
	v_pk_fma_f32 v[10:11], v[16:17], v[6:7], v[12:13] op_sel_hi:[0,1,1] neg_lo:[1,0,0] neg_hi:[1,0,0]
	v_pk_fma_f32 v[12:13], v[16:17], v[6:7], v[4:5] op_sel_hi:[0,1,1]
	v_pk_fma_f32 v[4:5], v[16:17], v[6:7], v[4:5] op_sel_hi:[0,1,1] neg_lo:[1,0,0] neg_hi:[1,0,0]
	v_mov_b32_e32 v13, v5
	ds_write_b64 v25, v[12:13]
	ds_write_b64 v1, v[10:11] offset:1440
	ds_read_b64 v[4:5], v24
	ds_read_b64 v[6:7], v1 offset:1280
	v_mov_b32_e32 v10, v9
	s_waitcnt vmcnt(2)
	v_mov_b32_e32 v11, v19
	v_mov_b32_e32 v8, v19
	s_waitcnt lgkmcnt(0)
	v_pk_add_f32 v[12:13], v[4:5], v[6:7]
	v_pk_add_f32 v[4:5], v[4:5], v[6:7] neg_lo:[0,1] neg_hi:[0,1]
	v_mov_b32_e32 v6, v13
	v_mov_b32_e32 v7, v4
	v_pk_mul_f32 v[6:7], v[6:7], 0.5 op_sel_hi:[1,0]
	s_nop 0
	v_mov_b32_e32 v13, v6
	v_mov_b32_e32 v4, v7
	v_pk_mul_f32 v[10:11], v[12:13], v[10:11]
	s_nop 0
	v_pk_fma_f32 v[12:13], v[8:9], v[4:5], v[10:11] neg_lo:[1,0,0] neg_hi:[1,0,0]
	v_pk_fma_f32 v[4:5], v[8:9], v[4:5], v[10:11]
	v_pk_fma_f32 v[10:11], v[18:19], v[6:7], v[12:13] op_sel_hi:[0,1,1] neg_lo:[1,0,0] neg_hi:[1,0,0]
	v_pk_fma_f32 v[12:13], v[18:19], v[6:7], v[4:5] op_sel_hi:[0,1,1]
	v_pk_fma_f32 v[4:5], v[18:19], v[6:7], v[4:5] op_sel_hi:[0,1,1] neg_lo:[1,0,0] neg_hi:[1,0,0]
	v_mov_b32_e32 v13, v5
	ds_write_b64 v24, v[12:13]
	ds_write_b64 v1, v[10:11] offset:1280
	ds_read_b64 v[4:5], v23
	ds_read_b64 v[6:7], v1 offset:1120
	v_mov_b32_e32 v10, v9
	s_waitcnt vmcnt(1)
	v_mov_b32_e32 v11, v27
	v_mov_b32_e32 v8, v27
	s_waitcnt lgkmcnt(0)
	v_pk_add_f32 v[12:13], v[4:5], v[6:7]
	v_pk_add_f32 v[4:5], v[4:5], v[6:7] neg_lo:[0,1] neg_hi:[0,1]
	v_mov_b32_e32 v6, v13
	v_mov_b32_e32 v7, v4
	v_pk_mul_f32 v[6:7], v[6:7], 0.5 op_sel_hi:[1,0]
	s_nop 0
	v_mov_b32_e32 v13, v6
	v_mov_b32_e32 v4, v7
	;; [unrolled: 25-line block ×3, first 2 shown]
	v_pk_mul_f32 v[10:11], v[12:13], v[10:11]
	s_nop 0
	v_pk_fma_f32 v[12:13], v[8:9], v[4:5], v[10:11] neg_lo:[1,0,0] neg_hi:[1,0,0]
	v_pk_fma_f32 v[4:5], v[8:9], v[4:5], v[10:11]
	v_pk_fma_f32 v[8:9], v[28:29], v[6:7], v[12:13] op_sel_hi:[0,1,1] neg_lo:[1,0,0] neg_hi:[1,0,0]
	v_pk_fma_f32 v[10:11], v[28:29], v[6:7], v[4:5] op_sel_hi:[0,1,1]
	v_pk_fma_f32 v[4:5], v[28:29], v[6:7], v[4:5] op_sel_hi:[0,1,1] neg_lo:[1,0,0] neg_hi:[1,0,0]
	v_mov_b32_e32 v11, v5
	ds_write_b64 v22, v[10:11]
	ds_write_b64 v1, v[8:9] offset:960
	s_waitcnt lgkmcnt(0)
	; wave barrier
	s_waitcnt lgkmcnt(0)
	s_and_saveexec_b64 s[0:1], vcc
	s_cbranch_execz .LBB0_19
; %bb.17:
	ds_read2_b64 v[4:7], v20 offset1:20
	v_mov_b32_e32 v1, 0
	v_lshl_add_u64 v[16:17], v[0:1], 3, v[2:3]
	ds_read2_b64 v[8:11], v20 offset0:40 offset1:60
	v_cmp_eq_u32_e32 vcc, 19, v0
	s_waitcnt lgkmcnt(1)
	global_store_dwordx2 v[16:17], v[4:5], off
	global_store_dwordx2 v[16:17], v[6:7], off offset:160
	ds_read2_b64 v[4:7], v20 offset0:80 offset1:100
	ds_read2_b64 v[12:15], v20 offset0:120 offset1:140
	s_waitcnt lgkmcnt(2)
	global_store_dwordx2 v[16:17], v[8:9], off offset:320
	global_store_dwordx2 v[16:17], v[10:11], off offset:480
	ds_read2_b64 v[8:11], v20 offset0:160 offset1:180
	s_waitcnt lgkmcnt(2)
	global_store_dwordx2 v[16:17], v[4:5], off offset:640
	global_store_dwordx2 v[16:17], v[6:7], off offset:800
	s_waitcnt lgkmcnt(1)
	global_store_dwordx2 v[16:17], v[12:13], off offset:960
	global_store_dwordx2 v[16:17], v[14:15], off offset:1120
	;; [unrolled: 3-line block ×3, first 2 shown]
	s_and_b64 exec, exec, vcc
	s_cbranch_execz .LBB0_19
; %bb.18:
	ds_read_b64 v[0:1], v20 offset:1448
	s_waitcnt lgkmcnt(0)
	global_store_dwordx2 v[2:3], v[0:1], off offset:1600
.LBB0_19:
	s_endpgm
	.section	.rodata,"a",@progbits
	.p2align	6, 0x0
	.amdhsa_kernel fft_rtc_back_len200_factors_10_10_2_wgs_60_tpt_20_halfLds_sp_ip_CI_unitstride_sbrr_R2C_dirReg
		.amdhsa_group_segment_fixed_size 0
		.amdhsa_private_segment_fixed_size 0
		.amdhsa_kernarg_size 88
		.amdhsa_user_sgpr_count 2
		.amdhsa_user_sgpr_dispatch_ptr 0
		.amdhsa_user_sgpr_queue_ptr 0
		.amdhsa_user_sgpr_kernarg_segment_ptr 1
		.amdhsa_user_sgpr_dispatch_id 0
		.amdhsa_user_sgpr_kernarg_preload_length 0
		.amdhsa_user_sgpr_kernarg_preload_offset 0
		.amdhsa_user_sgpr_private_segment_size 0
		.amdhsa_uses_dynamic_stack 0
		.amdhsa_enable_private_segment 0
		.amdhsa_system_sgpr_workgroup_id_x 1
		.amdhsa_system_sgpr_workgroup_id_y 0
		.amdhsa_system_sgpr_workgroup_id_z 0
		.amdhsa_system_sgpr_workgroup_info 0
		.amdhsa_system_vgpr_workitem_id 0
		.amdhsa_next_free_vgpr 78
		.amdhsa_next_free_sgpr 22
		.amdhsa_accum_offset 80
		.amdhsa_reserve_vcc 1
		.amdhsa_float_round_mode_32 0
		.amdhsa_float_round_mode_16_64 0
		.amdhsa_float_denorm_mode_32 3
		.amdhsa_float_denorm_mode_16_64 3
		.amdhsa_dx10_clamp 1
		.amdhsa_ieee_mode 1
		.amdhsa_fp16_overflow 0
		.amdhsa_tg_split 0
		.amdhsa_exception_fp_ieee_invalid_op 0
		.amdhsa_exception_fp_denorm_src 0
		.amdhsa_exception_fp_ieee_div_zero 0
		.amdhsa_exception_fp_ieee_overflow 0
		.amdhsa_exception_fp_ieee_underflow 0
		.amdhsa_exception_fp_ieee_inexact 0
		.amdhsa_exception_int_div_zero 0
	.end_amdhsa_kernel
	.text
.Lfunc_end0:
	.size	fft_rtc_back_len200_factors_10_10_2_wgs_60_tpt_20_halfLds_sp_ip_CI_unitstride_sbrr_R2C_dirReg, .Lfunc_end0-fft_rtc_back_len200_factors_10_10_2_wgs_60_tpt_20_halfLds_sp_ip_CI_unitstride_sbrr_R2C_dirReg
                                        ; -- End function
	.section	.AMDGPU.csdata,"",@progbits
; Kernel info:
; codeLenInByte = 5468
; NumSgprs: 28
; NumVgprs: 78
; NumAgprs: 0
; TotalNumVgprs: 78
; ScratchSize: 0
; MemoryBound: 0
; FloatMode: 240
; IeeeMode: 1
; LDSByteSize: 0 bytes/workgroup (compile time only)
; SGPRBlocks: 3
; VGPRBlocks: 9
; NumSGPRsForWavesPerEU: 28
; NumVGPRsForWavesPerEU: 78
; AccumOffset: 80
; Occupancy: 6
; WaveLimiterHint : 1
; COMPUTE_PGM_RSRC2:SCRATCH_EN: 0
; COMPUTE_PGM_RSRC2:USER_SGPR: 2
; COMPUTE_PGM_RSRC2:TRAP_HANDLER: 0
; COMPUTE_PGM_RSRC2:TGID_X_EN: 1
; COMPUTE_PGM_RSRC2:TGID_Y_EN: 0
; COMPUTE_PGM_RSRC2:TGID_Z_EN: 0
; COMPUTE_PGM_RSRC2:TIDIG_COMP_CNT: 0
; COMPUTE_PGM_RSRC3_GFX90A:ACCUM_OFFSET: 19
; COMPUTE_PGM_RSRC3_GFX90A:TG_SPLIT: 0
	.text
	.p2alignl 6, 3212836864
	.fill 256, 4, 3212836864
	.type	__hip_cuid_39ef0913136a6092,@object ; @__hip_cuid_39ef0913136a6092
	.section	.bss,"aw",@nobits
	.globl	__hip_cuid_39ef0913136a6092
__hip_cuid_39ef0913136a6092:
	.byte	0                               ; 0x0
	.size	__hip_cuid_39ef0913136a6092, 1

	.ident	"AMD clang version 19.0.0git (https://github.com/RadeonOpenCompute/llvm-project roc-6.4.0 25133 c7fe45cf4b819c5991fe208aaa96edf142730f1d)"
	.section	".note.GNU-stack","",@progbits
	.addrsig
	.addrsig_sym __hip_cuid_39ef0913136a6092
	.amdgpu_metadata
---
amdhsa.kernels:
  - .agpr_count:     0
    .args:
      - .actual_access:  read_only
        .address_space:  global
        .offset:         0
        .size:           8
        .value_kind:     global_buffer
      - .offset:         8
        .size:           8
        .value_kind:     by_value
      - .actual_access:  read_only
        .address_space:  global
        .offset:         16
        .size:           8
        .value_kind:     global_buffer
      - .actual_access:  read_only
        .address_space:  global
        .offset:         24
        .size:           8
        .value_kind:     global_buffer
      - .offset:         32
        .size:           8
        .value_kind:     by_value
      - .actual_access:  read_only
        .address_space:  global
        .offset:         40
        .size:           8
        .value_kind:     global_buffer
      - .actual_access:  read_only
        .address_space:  global
        .offset:         48
        .size:           8
        .value_kind:     global_buffer
      - .offset:         56
        .size:           4
        .value_kind:     by_value
      - .actual_access:  read_only
        .address_space:  global
        .offset:         64
        .size:           8
        .value_kind:     global_buffer
      - .actual_access:  read_only
        .address_space:  global
        .offset:         72
        .size:           8
        .value_kind:     global_buffer
      - .address_space:  global
        .offset:         80
        .size:           8
        .value_kind:     global_buffer
    .group_segment_fixed_size: 0
    .kernarg_segment_align: 8
    .kernarg_segment_size: 88
    .language:       OpenCL C
    .language_version:
      - 2
      - 0
    .max_flat_workgroup_size: 60
    .name:           fft_rtc_back_len200_factors_10_10_2_wgs_60_tpt_20_halfLds_sp_ip_CI_unitstride_sbrr_R2C_dirReg
    .private_segment_fixed_size: 0
    .sgpr_count:     28
    .sgpr_spill_count: 0
    .symbol:         fft_rtc_back_len200_factors_10_10_2_wgs_60_tpt_20_halfLds_sp_ip_CI_unitstride_sbrr_R2C_dirReg.kd
    .uniform_work_group_size: 1
    .uses_dynamic_stack: false
    .vgpr_count:     78
    .vgpr_spill_count: 0
    .wavefront_size: 64
amdhsa.target:   amdgcn-amd-amdhsa--gfx950
amdhsa.version:
  - 1
  - 2
...

	.end_amdgpu_metadata
